;; amdgpu-corpus repo=ROCm/rocFFT kind=compiled arch=gfx906 opt=O3
	.text
	.amdgcn_target "amdgcn-amd-amdhsa--gfx906"
	.amdhsa_code_object_version 6
	.protected	fft_rtc_fwd_len55_factors_5_11_wgs_253_tpt_11_sp_op_CI_CI_sbrr_dirReg ; -- Begin function fft_rtc_fwd_len55_factors_5_11_wgs_253_tpt_11_sp_op_CI_CI_sbrr_dirReg
	.globl	fft_rtc_fwd_len55_factors_5_11_wgs_253_tpt_11_sp_op_CI_CI_sbrr_dirReg
	.p2align	8
	.type	fft_rtc_fwd_len55_factors_5_11_wgs_253_tpt_11_sp_op_CI_CI_sbrr_dirReg,@function
fft_rtc_fwd_len55_factors_5_11_wgs_253_tpt_11_sp_op_CI_CI_sbrr_dirReg: ; @fft_rtc_fwd_len55_factors_5_11_wgs_253_tpt_11_sp_op_CI_CI_sbrr_dirReg
; %bb.0:
	s_load_dwordx4 s[16:19], s[4:5], 0x18
	s_load_dwordx4 s[12:15], s[4:5], 0x0
	;; [unrolled: 1-line block ×3, first 2 shown]
	v_mul_u32_u24_e32 v1, 0x1746, v0
	v_lshrrev_b32_e32 v1, 16, v1
	s_waitcnt lgkmcnt(0)
	s_load_dwordx2 s[20:21], s[16:17], 0x0
	s_load_dwordx2 s[2:3], s[18:19], 0x0
	v_mad_u64_u32 v[2:3], s[0:1], s6, 23, v[1:2]
	v_mov_b32_e32 v6, 0
	v_mov_b32_e32 v4, 0
	;; [unrolled: 1-line block ×3, first 2 shown]
	v_cmp_lt_u64_e64 s[0:1], s[14:15], 2
	v_mov_b32_e32 v5, 0
	v_mov_b32_e32 v13, v5
	;; [unrolled: 1-line block ×3, first 2 shown]
	s_and_b64 vcc, exec, s[0:1]
	v_mov_b32_e32 v12, v4
	v_mov_b32_e32 v16, v2
	s_cbranch_vccnz .LBB0_8
; %bb.1:
	s_load_dwordx2 s[0:1], s[4:5], 0x10
	s_add_u32 s6, s18, 8
	s_addc_u32 s7, s19, 0
	s_add_u32 s22, s16, 8
	v_mov_b32_e32 v4, 0
	s_addc_u32 s23, s17, 0
	v_mov_b32_e32 v5, 0
	s_waitcnt lgkmcnt(0)
	s_add_u32 s24, s0, 8
	v_mov_b32_e32 v13, v5
	v_mov_b32_e32 v9, v3
	s_addc_u32 s25, s1, 0
	s_mov_b64 s[26:27], 1
	v_mov_b32_e32 v12, v4
	v_mov_b32_e32 v8, v2
.LBB0_2:                                ; =>This Inner Loop Header: Depth=1
	s_load_dwordx2 s[28:29], s[24:25], 0x0
                                        ; implicit-def: $vgpr16_vgpr17
	s_waitcnt lgkmcnt(0)
	v_or_b32_e32 v7, s29, v9
	v_cmp_ne_u64_e32 vcc, 0, v[6:7]
	s_and_saveexec_b64 s[0:1], vcc
	s_xor_b64 s[30:31], exec, s[0:1]
	s_cbranch_execz .LBB0_4
; %bb.3:                                ;   in Loop: Header=BB0_2 Depth=1
	v_cvt_f32_u32_e32 v1, s28
	v_cvt_f32_u32_e32 v3, s29
	s_sub_u32 s0, 0, s28
	s_subb_u32 s1, 0, s29
	v_mac_f32_e32 v1, 0x4f800000, v3
	v_rcp_f32_e32 v1, v1
	v_mul_f32_e32 v1, 0x5f7ffffc, v1
	v_mul_f32_e32 v3, 0x2f800000, v1
	v_trunc_f32_e32 v3, v3
	v_mac_f32_e32 v1, 0xcf800000, v3
	v_cvt_u32_f32_e32 v3, v3
	v_cvt_u32_f32_e32 v1, v1
	v_mul_lo_u32 v7, s0, v3
	v_mul_hi_u32 v10, s0, v1
	v_mul_lo_u32 v14, s1, v1
	v_mul_lo_u32 v11, s0, v1
	v_add_u32_e32 v7, v10, v7
	v_add_u32_e32 v7, v7, v14
	v_mul_hi_u32 v10, v1, v11
	v_mul_lo_u32 v14, v1, v7
	v_mul_hi_u32 v16, v1, v7
	v_mul_hi_u32 v15, v3, v11
	v_mul_lo_u32 v11, v3, v11
	v_mul_hi_u32 v17, v3, v7
	v_add_co_u32_e32 v10, vcc, v10, v14
	v_addc_co_u32_e32 v14, vcc, 0, v16, vcc
	v_mul_lo_u32 v7, v3, v7
	v_add_co_u32_e32 v10, vcc, v10, v11
	v_addc_co_u32_e32 v10, vcc, v14, v15, vcc
	v_addc_co_u32_e32 v11, vcc, 0, v17, vcc
	v_add_co_u32_e32 v7, vcc, v10, v7
	v_addc_co_u32_e32 v10, vcc, 0, v11, vcc
	v_add_co_u32_e32 v1, vcc, v1, v7
	v_addc_co_u32_e32 v3, vcc, v3, v10, vcc
	v_mul_lo_u32 v7, s0, v3
	v_mul_hi_u32 v10, s0, v1
	v_mul_lo_u32 v11, s1, v1
	v_mul_lo_u32 v14, s0, v1
	v_add_u32_e32 v7, v10, v7
	v_add_u32_e32 v7, v7, v11
	v_mul_lo_u32 v15, v1, v7
	v_mul_hi_u32 v16, v1, v14
	v_mul_hi_u32 v17, v1, v7
	;; [unrolled: 1-line block ×3, first 2 shown]
	v_mul_lo_u32 v14, v3, v14
	v_mul_hi_u32 v10, v3, v7
	v_add_co_u32_e32 v15, vcc, v16, v15
	v_addc_co_u32_e32 v16, vcc, 0, v17, vcc
	v_mul_lo_u32 v7, v3, v7
	v_add_co_u32_e32 v14, vcc, v15, v14
	v_addc_co_u32_e32 v11, vcc, v16, v11, vcc
	v_addc_co_u32_e32 v10, vcc, 0, v10, vcc
	v_add_co_u32_e32 v7, vcc, v11, v7
	v_addc_co_u32_e32 v10, vcc, 0, v10, vcc
	v_add_co_u32_e32 v1, vcc, v1, v7
	v_addc_co_u32_e32 v3, vcc, v3, v10, vcc
	v_mad_u64_u32 v[10:11], s[0:1], v8, v3, 0
	v_mul_hi_u32 v7, v8, v1
	v_mad_u64_u32 v[14:15], s[0:1], v9, v3, 0
	v_add_co_u32_e32 v7, vcc, v7, v10
	v_addc_co_u32_e32 v16, vcc, 0, v11, vcc
	v_mad_u64_u32 v[10:11], s[0:1], v9, v1, 0
	v_add_co_u32_e32 v1, vcc, v7, v10
	v_addc_co_u32_e32 v1, vcc, v16, v11, vcc
	v_addc_co_u32_e32 v3, vcc, 0, v15, vcc
	v_add_co_u32_e32 v1, vcc, v1, v14
	v_addc_co_u32_e32 v3, vcc, 0, v3, vcc
	v_mul_lo_u32 v7, s29, v1
	v_mul_lo_u32 v14, s28, v3
	v_mad_u64_u32 v[10:11], s[0:1], s28, v1, 0
	v_add3_u32 v7, v11, v14, v7
	v_sub_u32_e32 v11, v9, v7
	v_mov_b32_e32 v14, s29
	v_sub_co_u32_e32 v10, vcc, v8, v10
	v_subb_co_u32_e64 v11, s[0:1], v11, v14, vcc
	v_subrev_co_u32_e64 v14, s[0:1], s28, v10
	v_subbrev_co_u32_e64 v11, s[0:1], 0, v11, s[0:1]
	v_cmp_le_u32_e64 s[0:1], s29, v11
	v_cndmask_b32_e64 v15, 0, -1, s[0:1]
	v_cmp_le_u32_e64 s[0:1], s28, v14
	v_cndmask_b32_e64 v14, 0, -1, s[0:1]
	v_cmp_eq_u32_e64 s[0:1], s29, v11
	v_cndmask_b32_e64 v11, v15, v14, s[0:1]
	v_add_co_u32_e64 v14, s[0:1], 2, v1
	v_addc_co_u32_e64 v15, s[0:1], 0, v3, s[0:1]
	v_add_co_u32_e64 v16, s[0:1], 1, v1
	v_addc_co_u32_e64 v17, s[0:1], 0, v3, s[0:1]
	v_subb_co_u32_e32 v7, vcc, v9, v7, vcc
	v_cmp_ne_u32_e64 s[0:1], 0, v11
	v_cmp_le_u32_e32 vcc, s29, v7
	v_cndmask_b32_e64 v11, v17, v15, s[0:1]
	v_cndmask_b32_e64 v15, 0, -1, vcc
	v_cmp_le_u32_e32 vcc, s28, v10
	v_cndmask_b32_e64 v10, 0, -1, vcc
	v_cmp_eq_u32_e32 vcc, s29, v7
	v_cndmask_b32_e32 v7, v15, v10, vcc
	v_cmp_ne_u32_e32 vcc, 0, v7
	v_cndmask_b32_e32 v17, v3, v11, vcc
	v_cndmask_b32_e64 v3, v16, v14, s[0:1]
	v_cndmask_b32_e32 v16, v1, v3, vcc
.LBB0_4:                                ;   in Loop: Header=BB0_2 Depth=1
	s_andn2_saveexec_b64 s[0:1], s[30:31]
	s_cbranch_execz .LBB0_6
; %bb.5:                                ;   in Loop: Header=BB0_2 Depth=1
	v_cvt_f32_u32_e32 v1, s28
	s_sub_i32 s30, 0, s28
	v_mov_b32_e32 v17, v6
	v_rcp_iflag_f32_e32 v1, v1
	v_mul_f32_e32 v1, 0x4f7ffffe, v1
	v_cvt_u32_f32_e32 v1, v1
	v_mul_lo_u32 v3, s30, v1
	v_mul_hi_u32 v3, v1, v3
	v_add_u32_e32 v1, v1, v3
	v_mul_hi_u32 v1, v8, v1
	v_mul_lo_u32 v3, v1, s28
	v_add_u32_e32 v7, 1, v1
	v_sub_u32_e32 v3, v8, v3
	v_subrev_u32_e32 v10, s28, v3
	v_cmp_le_u32_e32 vcc, s28, v3
	v_cndmask_b32_e32 v3, v3, v10, vcc
	v_cndmask_b32_e32 v1, v1, v7, vcc
	v_add_u32_e32 v7, 1, v1
	v_cmp_le_u32_e32 vcc, s28, v3
	v_cndmask_b32_e32 v16, v1, v7, vcc
.LBB0_6:                                ;   in Loop: Header=BB0_2 Depth=1
	s_or_b64 exec, exec, s[0:1]
	v_mul_lo_u32 v1, v17, s28
	v_mul_lo_u32 v3, v16, s29
	v_mad_u64_u32 v[10:11], s[0:1], v16, s28, 0
	s_load_dwordx2 s[0:1], s[22:23], 0x0
	s_load_dwordx2 s[28:29], s[6:7], 0x0
	v_add3_u32 v1, v11, v3, v1
	v_sub_co_u32_e32 v3, vcc, v8, v10
	v_subb_co_u32_e32 v1, vcc, v9, v1, vcc
	s_waitcnt lgkmcnt(0)
	v_mul_lo_u32 v7, s0, v1
	v_mul_lo_u32 v8, s1, v3
	v_mad_u64_u32 v[4:5], s[0:1], s0, v3, v[4:5]
	s_add_u32 s26, s26, 1
	s_addc_u32 s27, s27, 0
	s_add_u32 s6, s6, 8
	v_mul_lo_u32 v1, s28, v1
	v_mul_lo_u32 v9, s29, v3
	v_mad_u64_u32 v[12:13], s[0:1], s28, v3, v[12:13]
	v_add3_u32 v5, v8, v5, v7
	s_addc_u32 s7, s7, 0
	v_mov_b32_e32 v7, s14
	s_add_u32 s22, s22, 8
	v_mov_b32_e32 v8, s15
	s_addc_u32 s23, s23, 0
	v_cmp_ge_u64_e32 vcc, s[26:27], v[7:8]
	s_add_u32 s24, s24, 8
	v_add3_u32 v13, v9, v13, v1
	s_addc_u32 s25, s25, 0
	s_cbranch_vccnz .LBB0_8
; %bb.7:                                ;   in Loop: Header=BB0_2 Depth=1
	v_mov_b32_e32 v8, v16
	v_mov_b32_e32 v9, v17
	s_branch .LBB0_2
.LBB0_8:
	s_load_dwordx2 s[0:1], s[4:5], 0x28
	s_lshl_b64 s[14:15], s[14:15], 3
	s_add_u32 s4, s18, s14
	s_addc_u32 s5, s19, s15
                                        ; implicit-def: $vgpr26
	s_waitcnt lgkmcnt(0)
	v_cmp_gt_u64_e32 vcc, s[0:1], v[16:17]
	v_cmp_le_u64_e64 s[0:1], s[0:1], v[16:17]
	s_and_saveexec_b64 s[6:7], s[0:1]
	s_xor_b64 s[0:1], exec, s[6:7]
; %bb.9:
	s_mov_b32 s6, 0x1745d175
	v_mul_hi_u32 v1, v0, s6
                                        ; implicit-def: $vgpr4_vgpr5
	v_mul_u32_u24_e32 v1, 11, v1
	v_sub_u32_e32 v26, v0, v1
                                        ; implicit-def: $vgpr0
; %bb.10:
	s_or_saveexec_b64 s[6:7], s[0:1]
                                        ; implicit-def: $vgpr1
                                        ; implicit-def: $vgpr8
                                        ; implicit-def: $vgpr19
                                        ; implicit-def: $vgpr6
                                        ; implicit-def: $vgpr10
	s_xor_b64 exec, exec, s[6:7]
	s_cbranch_execz .LBB0_12
; %bb.11:
	s_add_u32 s0, s16, s14
	s_mov_b32 s14, 0x1745d175
	v_mul_hi_u32 v1, v0, s14
	s_addc_u32 s1, s17, s15
	s_load_dwordx2 s[0:1], s[0:1], 0x0
	v_mul_u32_u24_e32 v1, 11, v1
	v_sub_u32_e32 v26, v0, v1
	v_mad_u64_u32 v[0:1], s[14:15], s20, v26, 0
	s_waitcnt lgkmcnt(0)
	v_mul_lo_u32 v3, s1, v16
	v_mul_lo_u32 v10, s0, v17
	v_mad_u64_u32 v[6:7], s[0:1], s0, v16, 0
	v_mad_u64_u32 v[8:9], s[0:1], s21, v26, v[1:2]
	v_add3_u32 v7, v7, v10, v3
	v_lshlrev_b64 v[6:7], 3, v[6:7]
	v_mov_b32_e32 v1, v8
	v_mov_b32_e32 v3, s9
	v_add_co_u32_e64 v8, s[0:1], s8, v6
	v_add_u32_e32 v9, 11, v26
	v_addc_co_u32_e64 v7, s[0:1], v3, v7, s[0:1]
	v_lshlrev_b64 v[3:4], 3, v[4:5]
	v_mad_u64_u32 v[5:6], s[0:1], s20, v9, 0
	v_add_co_u32_e64 v11, s[0:1], v8, v3
	v_mov_b32_e32 v3, v6
	v_addc_co_u32_e64 v24, s[0:1], v7, v4, s[0:1]
	v_mad_u64_u32 v[3:4], s[0:1], s21, v9, v[3:4]
	v_add_u32_e32 v4, 22, v26
	v_mad_u64_u32 v[7:8], s[0:1], s20, v4, 0
	v_lshlrev_b64 v[0:1], 3, v[0:1]
	v_mov_b32_e32 v6, v3
	v_add_co_u32_e64 v9, s[0:1], v11, v0
	v_mov_b32_e32 v3, v8
	v_addc_co_u32_e64 v10, s[0:1], v24, v1, s[0:1]
	v_lshlrev_b64 v[0:1], 3, v[5:6]
	v_mad_u64_u32 v[3:4], s[0:1], s21, v4, v[3:4]
	v_add_u32_e32 v6, 33, v26
	v_mad_u64_u32 v[4:5], s[0:1], s20, v6, 0
	v_add_co_u32_e64 v14, s[0:1], v11, v0
	v_mov_b32_e32 v8, v3
	v_mov_b32_e32 v3, v5
	v_addc_co_u32_e64 v15, s[0:1], v24, v1, s[0:1]
	v_mad_u64_u32 v[5:6], s[0:1], s21, v6, v[3:4]
	v_lshlrev_b64 v[0:1], 3, v[7:8]
	v_add_co_u32_e64 v20, s[0:1], v11, v0
	v_addc_co_u32_e64 v21, s[0:1], v24, v1, s[0:1]
	v_lshlrev_b64 v[0:1], 3, v[4:5]
	v_add_u32_e32 v5, 44, v26
	v_mad_u64_u32 v[3:4], s[0:1], s20, v5, 0
	v_add_co_u32_e64 v22, s[0:1], v11, v0
	v_mov_b32_e32 v0, v4
	v_addc_co_u32_e64 v23, s[0:1], v24, v1, s[0:1]
	v_mad_u64_u32 v[4:5], s[0:1], s21, v5, v[0:1]
	global_load_dwordx2 v[0:1], v[9:10], off
	global_load_dwordx2 v[7:8], v[14:15], off
	;; [unrolled: 1-line block ×4, first 2 shown]
	v_lshlrev_b64 v[3:4], 3, v[3:4]
	v_add_co_u32_e64 v3, s[0:1], v11, v3
	v_addc_co_u32_e64 v4, s[0:1], v24, v4, s[0:1]
	global_load_dwordx2 v[9:10], v[3:4], off
.LBB0_12:
	s_or_b64 exec, exec, s[6:7]
	s_mov_b32 s0, 0xb21642c9
	v_mul_hi_u32 v20, v2, s0
	s_waitcnt vmcnt(3)
	v_add_f32_e32 v3, v0, v7
	s_waitcnt vmcnt(2)
	v_add_f32_e32 v3, v3, v18
	v_add_f32_e32 v15, v1, v8
	v_lshrrev_b32_e32 v20, 4, v20
	v_mul_lo_u32 v20, v20, 23
	s_waitcnt vmcnt(1)
	v_add_f32_e32 v3, v3, v5
	v_add_f32_e32 v15, v15, v19
	s_waitcnt vmcnt(0)
	v_add_f32_e32 v14, v3, v9
	v_add_f32_e32 v3, v18, v5
	v_sub_f32_e32 v11, v7, v18
	v_sub_f32_e32 v21, v18, v7
	v_add_f32_e32 v15, v15, v6
	v_sub_f32_e32 v23, v18, v5
	v_add_f32_e32 v18, v7, v9
	;; [unrolled: 2-line block ×3, first 2 shown]
	v_add_f32_e32 v22, v19, v6
	v_sub_f32_e32 v24, v8, v19
	v_sub_f32_e32 v25, v19, v8
	;; [unrolled: 1-line block ×4, first 2 shown]
	v_add_f32_e32 v8, v8, v10
	v_sub_f32_e32 v27, v9, v5
	v_sub_f32_e32 v5, v5, v9
	;; [unrolled: 1-line block ×4, first 2 shown]
	v_sub_u32_e32 v10, v2, v20
	v_fma_f32 v2, -0.5, v3, v0
	v_fmac_f32_e32 v0, -0.5, v18
	v_mov_b32_e32 v18, v0
	v_fmac_f32_e32 v18, 0xbf737871, v4
	v_fmac_f32_e32 v0, 0x3f737871, v4
	v_add_f32_e32 v3, v21, v5
	v_fmac_f32_e32 v18, 0x3f167918, v19
	v_fmac_f32_e32 v0, 0xbf167918, v19
	;; [unrolled: 1-line block ×4, first 2 shown]
	v_fma_f32 v3, -0.5, v22, v1
	v_mov_b32_e32 v20, v2
	v_mov_b32_e32 v21, v3
	v_fmac_f32_e32 v1, -0.5, v8
	v_fmac_f32_e32 v20, 0x3f737871, v19
	v_fmac_f32_e32 v2, 0xbf737871, v19
	s_load_dwordx2 s[4:5], s[4:5], 0x0
	v_fmac_f32_e32 v21, 0xbf737871, v7
	v_fmac_f32_e32 v3, 0x3f737871, v7
	v_mov_b32_e32 v19, v1
	v_add_f32_e32 v5, v24, v9
	v_fmac_f32_e32 v21, 0xbf167918, v23
	v_fmac_f32_e32 v3, 0x3f167918, v23
	;; [unrolled: 1-line block ×7, first 2 shown]
	v_add_f32_e32 v5, v25, v6
	v_fmac_f32_e32 v1, 0x3f167918, v7
	v_add_f32_e32 v11, v11, v27
	v_fmac_f32_e32 v20, 0x3f167918, v4
	v_fmac_f32_e32 v2, 0xbf167918, v4
	v_mul_u32_u24_e32 v4, 55, v10
	v_fmac_f32_e32 v19, 0x3e9e377a, v5
	v_fmac_f32_e32 v1, 0x3e9e377a, v5
	v_mad_u32_u24 v5, v26, 40, 0
	v_fmac_f32_e32 v20, 0x3e9e377a, v11
	v_fmac_f32_e32 v2, 0x3e9e377a, v11
	v_lshl_add_u32 v6, v4, 3, v5
	v_cmp_gt_u32_e64 s[0:1], 5, v26
	ds_write2_b64 v6, v[14:15], v[20:21] offset1:1
	ds_write2_b64 v6, v[18:19], v[0:1] offset0:2 offset1:3
	ds_write_b64 v6, v[2:3] offset:32
	s_waitcnt lgkmcnt(0)
	s_barrier
	s_waitcnt lgkmcnt(0)
                                        ; implicit-def: $vgpr25
                                        ; implicit-def: $vgpr23
                                        ; implicit-def: $vgpr7
                                        ; implicit-def: $vgpr11
	s_and_saveexec_b64 s[6:7], s[0:1]
	s_cbranch_execz .LBB0_14
; %bb.13:
	v_lshlrev_b32_e32 v2, 5, v26
	v_lshlrev_b32_e32 v0, 3, v4
	;; [unrolled: 1-line block ×3, first 2 shown]
	v_sub_u32_e32 v2, v5, v2
	v_add3_u32 v1, 0, v0, v1
	v_add_u32_e32 v24, v2, v0
	ds_read2_b64 v[20:23], v24 offset0:5 offset1:10
	ds_read_b64 v[14:15], v1
	ds_read2_b64 v[0:3], v24 offset0:15 offset1:20
	ds_read2_b64 v[8:11], v24 offset0:25 offset1:30
	;; [unrolled: 1-line block ×3, first 2 shown]
	s_waitcnt lgkmcnt(4)
	v_mov_b32_e32 v19, v23
	v_mov_b32_e32 v18, v22
	ds_read2_b32 v[22:23], v24 offset0:70 offset1:71
	ds_read_b64 v[24:25], v24 offset:400
.LBB0_14:
	s_or_b64 exec, exec, s[6:7]
	v_cmp_gt_u32_e64 s[0:1], 5, v26
	s_and_b64 s[0:1], vcc, s[0:1]
	s_and_saveexec_b64 s[6:7], s[0:1]
	s_cbranch_execz .LBB0_16
; %bb.15:
	s_movk_i32 s0, 0xcd
	v_mul_lo_u16_sdwa v27, v26, s0 dst_sel:DWORD dst_unused:UNUSED_PAD src0_sel:BYTE_0 src1_sel:DWORD
	v_lshrrev_b16_e32 v27, 10, v27
	v_mul_lo_u16_e32 v27, 5, v27
	v_sub_u16_e32 v27, v26, v27
	v_mul_lo_u16_e32 v27, 10, v27
	v_and_b32_e32 v27, 0xfe, v27
	v_lshlrev_b32_e32 v47, 3, v27
	global_load_dwordx4 v[27:30], v47, s[12:13] offset:32
	global_load_dwordx4 v[31:34], v47, s[12:13]
	global_load_dwordx4 v[35:38], v47, s[12:13] offset:16
	global_load_dwordx4 v[39:42], v47, s[12:13] offset:64
	;; [unrolled: 1-line block ×3, first 2 shown]
	v_mul_lo_u32 v49, s5, v16
	v_mul_lo_u32 v50, s4, v17
	v_mad_u64_u32 v[16:17], s[0:1], s4, v16, 0
	v_mad_u64_u32 v[47:48], s[0:1], s2, v26, 0
	v_add3_u32 v17, v17, v50, v49
	v_lshlrev_b64 v[16:17], 3, v[16:17]
	v_mad_u64_u32 v[48:49], s[0:1], s3, v26, v[48:49]
	v_mov_b32_e32 v51, s11
	v_lshlrev_b64 v[12:13], 3, v[12:13]
	v_add_co_u32_e32 v16, vcc, s10, v16
	v_addc_co_u32_e32 v17, vcc, v51, v17, vcc
	v_add_co_u32_e32 v12, vcc, v16, v12
	v_addc_co_u32_e32 v13, vcc, v17, v13, vcc
	v_lshlrev_b64 v[16:17], 3, v[47:48]
	s_mov_b32 s1, 0x3f575c64
	v_add_co_u32_e32 v16, vcc, v12, v16
	v_addc_co_u32_e32 v17, vcc, v13, v17, vcc
	s_mov_b32 s0, 0x3ed4b147
	s_mov_b32 s4, 0xbe11bafb
	;; [unrolled: 1-line block ×4, first 2 shown]
	v_add_u32_e32 v59, 15, v26
	s_waitcnt vmcnt(4) lgkmcnt(3)
	v_mul_f32_e32 v47, v9, v28
	v_mul_f32_e32 v28, v8, v28
	s_waitcnt vmcnt(3)
	v_mul_f32_e32 v49, v21, v32
	v_mul_f32_e32 v32, v20, v32
	v_mul_f32_e32 v48, v11, v30
	v_mul_f32_e32 v30, v10, v30
	v_mul_f32_e32 v50, v19, v34
	v_mul_f32_e32 v34, v18, v34
	s_waitcnt vmcnt(2)
	v_mul_f32_e32 v51, v3, v38
	v_mul_f32_e32 v38, v2, v38
	;; [unrolled: 1-line block ×4, first 2 shown]
	v_fmac_f32_e32 v28, v9, v27
	v_fma_f32 v9, v20, v31, -v49
	v_fmac_f32_e32 v32, v21, v31
	v_fmac_f32_e32 v30, v11, v29
	v_fma_f32 v11, v18, v33, -v50
	v_fmac_f32_e32 v34, v19, v33
	;; [unrolled: 3-line block ×3, first 2 shown]
	v_add_f32_e32 v0, v15, v32
	v_add_f32_e32 v1, v14, v9
	;; [unrolled: 1-line block ×4, first 2 shown]
	v_fma_f32 v2, v2, v37, -v51
	v_add_f32_e32 v0, v0, v36
	v_add_f32_e32 v1, v1, v3
	v_fma_f32 v8, v8, v27, -v47
	v_add_f32_e32 v0, v0, v38
	v_add_f32_e32 v1, v1, v2
	s_waitcnt vmcnt(0) lgkmcnt(2)
	v_mul_f32_e32 v55, v5, v46
	v_mul_f32_e32 v46, v4, v46
	s_waitcnt lgkmcnt(1)
	v_mul_f32_e32 v56, v23, v44
	v_mul_f32_e32 v44, v22, v44
	v_fma_f32 v10, v10, v29, -v48
	v_add_f32_e32 v0, v0, v28
	v_add_f32_e32 v1, v1, v8
	v_fmac_f32_e32 v46, v5, v45
	v_fma_f32 v5, v22, v43, -v56
	v_fmac_f32_e32 v44, v23, v43
	v_add_f32_e32 v0, v0, v30
	v_add_f32_e32 v1, v1, v10
	v_mul_f32_e32 v54, v7, v40
	v_mul_f32_e32 v40, v6, v40
	v_fma_f32 v4, v4, v45, -v55
	v_add_f32_e32 v0, v44, v0
	v_add_f32_e32 v1, v5, v1
	s_waitcnt lgkmcnt(0)
	v_mul_f32_e32 v53, v25, v42
	v_mul_f32_e32 v42, v24, v42
	v_fma_f32 v6, v6, v39, -v54
	v_fmac_f32_e32 v40, v7, v39
	v_add_f32_e32 v0, v46, v0
	v_add_f32_e32 v1, v4, v1
	v_fma_f32 v18, v24, v41, -v53
	v_fmac_f32_e32 v42, v25, v41
	v_add_f32_e32 v0, v40, v0
	v_add_f32_e32 v7, v6, v1
	;; [unrolled: 1-line block ×4, first 2 shown]
	v_sub_f32_e32 v7, v9, v18
	global_store_dwordx2 v[16:17], v[0:1], off
	v_add_f32_e32 v16, v9, v18
	v_sub_f32_e32 v18, v11, v6
	v_sub_f32_e32 v27, v8, v10
	v_add_f32_e32 v29, v8, v10
	v_add_f32_e32 v31, v28, v30
	v_sub_f32_e32 v8, v28, v30
	v_mul_f32_e32 v28, 0xbf0a6770, v7
	v_add_f32_e32 v17, v32, v42
	v_mov_b32_e32 v0, v28
	v_mul_f32_e32 v30, 0xbf68dda4, v18
	v_add_f32_e32 v19, v11, v6
	v_add_f32_e32 v20, v34, v40
	v_sub_f32_e32 v11, v3, v4
	v_fmac_f32_e32 v0, 0x3f575c64, v17
	v_mov_b32_e32 v1, v30
	v_sub_f32_e32 v9, v32, v42
	v_add_f32_e32 v0, v15, v0
	v_fmac_f32_e32 v1, 0x3ed4b147, v20
	v_mul_f32_e32 v32, 0xbf7d64f0, v11
	v_add_f32_e32 v22, v36, v46
	v_sub_f32_e32 v23, v2, v5
	v_add_f32_e32 v0, v0, v1
	v_mov_b32_e32 v1, v32
	v_fmac_f32_e32 v1, 0xbe11bafb, v22
	v_mul_f32_e32 v33, 0xbf4178ce, v23
	v_add_f32_e32 v25, v38, v44
	v_add_f32_e32 v0, v0, v1
	v_mov_b32_e32 v1, v33
	v_sub_f32_e32 v6, v34, v40
	v_fmac_f32_e32 v1, 0xbf27a4f4, v25
	v_mul_f32_e32 v34, 0xbf0a6770, v9
	v_add_f32_e32 v21, v3, v4
	v_sub_f32_e32 v4, v36, v46
	v_add_f32_e32 v24, v2, v5
	v_add_f32_e32 v2, v0, v1
	v_fma_f32 v0, v16, s1, -v34
	v_mul_f32_e32 v35, 0xbf68dda4, v6
	v_sub_f32_e32 v5, v38, v44
	v_add_f32_e32 v0, v14, v0
	v_fma_f32 v1, v19, s0, -v35
	v_mul_f32_e32 v36, 0xbf7d64f0, v4
	v_add_f32_e32 v0, v0, v1
	v_fma_f32 v1, v21, s4, -v36
	v_mul_f32_e32 v37, 0xbf4178ce, v5
	v_add_f32_e32 v0, v0, v1
	v_fma_f32 v1, v24, s5, -v37
	v_add_u32_e32 v39, 5, v26
	v_add_f32_e32 v10, v0, v1
	v_mad_u64_u32 v[0:1], s[8:9], s2, v39, 0
	v_mul_f32_e32 v38, 0xbe903f40, v27
	v_mov_b32_e32 v3, v38
	v_fmac_f32_e32 v3, 0xbf75a155, v31
	v_add_f32_e32 v3, v2, v3
	v_mad_u64_u32 v[1:2], s[8:9], s3, v39, v[1:2]
	v_mul_f32_e32 v39, 0xbe903f40, v8
	v_fma_f32 v2, v29, s6, -v39
	v_lshlrev_b64 v[0:1], 3, v[0:1]
	v_add_f32_e32 v2, v10, v2
	v_add_co_u32_e32 v0, vcc, v12, v0
	v_addc_co_u32_e32 v1, vcc, v13, v1, vcc
	v_mul_f32_e32 v10, 0xbf68dda4, v7
	global_store_dwordx2 v[0:1], v[2:3], off
	v_mov_b32_e32 v0, v10
	v_mul_f32_e32 v40, 0xbf4178ce, v18
	v_fmac_f32_e32 v0, 0x3ed4b147, v17
	v_mov_b32_e32 v1, v40
	v_add_f32_e32 v0, v15, v0
	v_fmac_f32_e32 v1, 0xbf27a4f4, v20
	v_mul_f32_e32 v41, 0x3e903f40, v11
	v_add_f32_e32 v0, v0, v1
	v_mov_b32_e32 v1, v41
	v_fmac_f32_e32 v1, 0xbf75a155, v22
	v_mul_f32_e32 v42, 0x3f7d64f0, v23
	v_add_f32_e32 v0, v0, v1
	v_mov_b32_e32 v1, v42
	v_fmac_f32_e32 v1, 0xbe11bafb, v25
	v_mul_f32_e32 v43, 0xbf68dda4, v9
	v_add_f32_e32 v2, v0, v1
	v_fma_f32 v0, v16, s0, -v43
	v_mul_f32_e32 v44, 0xbf4178ce, v6
	v_add_f32_e32 v0, v14, v0
	v_fma_f32 v1, v19, s5, -v44
	;; [unrolled: 3-line block ×4, first 2 shown]
	v_add_u32_e32 v49, 10, v26
	v_add_f32_e32 v47, v0, v1
	v_mad_u64_u32 v[0:1], s[8:9], s2, v49, 0
	v_mul_f32_e32 v48, 0x3f0a6770, v27
	v_mov_b32_e32 v3, v48
	v_fmac_f32_e32 v3, 0x3f575c64, v31
	v_add_f32_e32 v3, v2, v3
	v_mad_u64_u32 v[1:2], s[8:9], s3, v49, v[1:2]
	v_mul_f32_e32 v49, 0x3f0a6770, v8
	v_fma_f32 v2, v29, s1, -v49
	v_lshlrev_b64 v[0:1], 3, v[0:1]
	v_add_f32_e32 v2, v47, v2
	v_add_co_u32_e32 v0, vcc, v12, v0
	v_addc_co_u32_e32 v1, vcc, v13, v1, vcc
	v_mul_f32_e32 v47, 0xbf7d64f0, v7
	global_store_dwordx2 v[0:1], v[2:3], off
	v_mov_b32_e32 v0, v47
	v_mul_f32_e32 v50, 0x3e903f40, v18
	v_fmac_f32_e32 v0, 0xbe11bafb, v17
	v_mov_b32_e32 v1, v50
	v_add_f32_e32 v0, v15, v0
	v_fmac_f32_e32 v1, 0xbf75a155, v20
	v_mul_f32_e32 v51, 0x3f68dda4, v11
	v_add_f32_e32 v0, v0, v1
	v_mov_b32_e32 v1, v51
	v_fmac_f32_e32 v1, 0x3ed4b147, v22
	v_mul_f32_e32 v52, 0xbf0a6770, v23
	v_add_f32_e32 v0, v0, v1
	v_mov_b32_e32 v1, v52
	v_fmac_f32_e32 v1, 0x3f575c64, v25
	v_mul_f32_e32 v53, 0xbf7d64f0, v9
	v_add_f32_e32 v2, v0, v1
	v_fma_f32 v0, v16, s4, -v53
	v_mul_f32_e32 v54, 0x3e903f40, v6
	v_add_f32_e32 v0, v14, v0
	v_fma_f32 v1, v19, s6, -v54
	;; [unrolled: 3-line block ×4, first 2 shown]
	v_add_f32_e32 v57, v0, v1
	v_mad_u64_u32 v[0:1], s[8:9], s2, v59, 0
	v_mul_f32_e32 v58, 0xbf4178ce, v27
	v_mov_b32_e32 v3, v58
	v_fmac_f32_e32 v3, 0xbf27a4f4, v31
	v_add_f32_e32 v3, v2, v3
	v_mad_u64_u32 v[1:2], s[8:9], s3, v59, v[1:2]
	v_mul_f32_e32 v59, 0xbf4178ce, v8
	v_fma_f32 v2, v29, s5, -v59
	v_lshlrev_b64 v[0:1], 3, v[0:1]
	v_add_f32_e32 v2, v57, v2
	v_add_co_u32_e32 v0, vcc, v12, v0
	v_addc_co_u32_e32 v1, vcc, v13, v1, vcc
	v_mul_f32_e32 v57, 0xbe903f40, v7
	global_store_dwordx2 v[0:1], v[2:3], off
	v_mov_b32_e32 v0, v57
	v_mul_f32_e32 v60, 0x3f0a6770, v18
	v_fmac_f32_e32 v0, 0xbf75a155, v17
	v_mov_b32_e32 v1, v60
	v_add_f32_e32 v0, v15, v0
	v_fmac_f32_e32 v1, 0x3f575c64, v20
	v_mul_f32_e32 v61, 0xbf4178ce, v11
	v_add_f32_e32 v0, v0, v1
	v_mov_b32_e32 v1, v61
	v_fmac_f32_e32 v1, 0xbf27a4f4, v22
	v_mul_f32_e32 v62, 0x3f68dda4, v23
	v_add_f32_e32 v0, v0, v1
	v_mov_b32_e32 v1, v62
	v_fmac_f32_e32 v1, 0x3ed4b147, v25
	v_mul_f32_e32 v63, 0xbe903f40, v9
	v_add_f32_e32 v0, v0, v1
	v_fma_f32 v1, v16, s6, -v63
	v_mul_f32_e32 v64, 0x3f0a6770, v6
	v_add_f32_e32 v1, v14, v1
	v_fma_f32 v2, v19, s1, -v64
	;; [unrolled: 3-line block ×4, first 2 shown]
	v_mul_f32_e32 v67, 0xbf7d64f0, v27
	v_add_f32_e32 v2, v1, v2
	v_mov_b32_e32 v1, v67
	v_fmac_f32_e32 v1, 0xbe11bafb, v31
	v_mul_f32_e32 v68, 0xbf7d64f0, v8
	v_add_f32_e32 v1, v0, v1
	v_fma_f32 v0, v29, s4, -v68
	v_mul_f32_e32 v7, 0xbf4178ce, v7
	v_add_f32_e32 v0, v2, v0
	v_mov_b32_e32 v2, v7
	v_mul_f32_e32 v18, 0x3f7d64f0, v18
	v_fmac_f32_e32 v2, 0xbf27a4f4, v17
	v_mov_b32_e32 v3, v18
	v_add_f32_e32 v2, v15, v2
	v_fmac_f32_e32 v3, 0xbe11bafb, v20
	v_mul_f32_e32 v11, 0xbf0a6770, v11
	v_add_f32_e32 v2, v2, v3
	v_mov_b32_e32 v3, v11
	v_fmac_f32_e32 v3, 0x3f575c64, v22
	v_mul_f32_e32 v23, 0xbe903f40, v23
	v_add_f32_e32 v2, v2, v3
	v_mov_b32_e32 v3, v23
	v_fmac_f32_e32 v3, 0xbf75a155, v25
	v_mul_f32_e32 v9, 0xbf4178ce, v9
	v_add_f32_e32 v2, v2, v3
	v_fma_f32 v3, v16, s5, -v9
	v_mul_f32_e32 v6, 0x3f7d64f0, v6
	v_add_f32_e32 v3, v14, v3
	v_fma_f32 v69, v19, s4, -v6
	v_add_f32_e32 v3, v3, v69
	v_mul_f32_e32 v69, 0xbf0a6770, v4
	v_fma_f32 v4, v21, s1, -v69
	v_mul_f32_e32 v70, 0xbe903f40, v5
	v_fmac_f32_e32 v9, 0xbf27a4f4, v16
	v_add_f32_e32 v3, v3, v4
	v_fma_f32 v4, v24, s6, -v70
	v_mul_f32_e32 v27, 0x3f68dda4, v27
	v_fma_f32 v7, v17, s5, -v7
	v_add_f32_e32 v9, v14, v9
	v_fmac_f32_e32 v6, 0xbe11bafb, v19
	v_add_f32_e32 v4, v3, v4
	v_mov_b32_e32 v3, v27
	v_add_f32_e32 v7, v15, v7
	v_fma_f32 v18, v20, s4, -v18
	v_add_f32_e32 v6, v9, v6
	v_fmac_f32_e32 v69, 0x3f575c64, v21
	v_fmac_f32_e32 v3, 0x3ed4b147, v31
	v_mul_f32_e32 v8, 0x3f68dda4, v8
	v_add_f32_e32 v7, v7, v18
	v_fma_f32 v11, v22, s1, -v11
	v_add_f32_e32 v6, v6, v69
	v_fmac_f32_e32 v70, 0xbf75a155, v24
	v_add_f32_e32 v3, v2, v3
	v_fma_f32 v2, v29, s0, -v8
	v_add_f32_e32 v7, v7, v11
	v_fma_f32 v11, v25, s6, -v23
	v_add_f32_e32 v6, v6, v70
	v_fmac_f32_e32 v8, 0x3ed4b147, v29
	v_add_f32_e32 v7, v7, v11
	v_fma_f32 v9, v31, s0, -v27
	v_add_f32_e32 v6, v6, v8
	v_fma_f32 v8, v17, s4, -v47
	v_add_f32_e32 v7, v7, v9
	v_add_f32_e32 v8, v15, v8
	v_fma_f32 v9, v20, s6, -v50
	v_add_f32_e32 v8, v8, v9
	v_fma_f32 v9, v22, s0, -v51
	;; [unrolled: 2-line block ×3, first 2 shown]
	v_fmac_f32_e32 v53, 0xbe11bafb, v16
	v_add_f32_e32 v8, v8, v9
	v_add_f32_e32 v9, v14, v53
	v_fmac_f32_e32 v54, 0xbf75a155, v19
	v_add_f32_e32 v9, v9, v54
	v_fmac_f32_e32 v55, 0x3ed4b147, v21
	;; [unrolled: 2-line block ×3, first 2 shown]
	v_add_f32_e32 v11, v9, v56
	v_fma_f32 v9, v31, s5, -v58
	v_fmac_f32_e32 v59, 0xbf27a4f4, v29
	v_fma_f32 v10, v17, s0, -v10
	v_add_f32_e32 v2, v4, v2
	v_fma_f32 v4, v17, s6, -v57
	v_add_f32_e32 v9, v8, v9
	v_add_f32_e32 v8, v11, v59
	;; [unrolled: 1-line block ×3, first 2 shown]
	v_fma_f32 v11, v20, s5, -v40
	v_add_f32_e32 v4, v15, v4
	v_fma_f32 v5, v20, s1, -v60
	v_add_f32_e32 v10, v10, v11
	;; [unrolled: 2-line block ×4, first 2 shown]
	v_fma_f32 v11, v25, s4, -v42
	v_fmac_f32_e32 v43, 0x3ed4b147, v16
	v_add_f32_e32 v4, v4, v5
	v_fma_f32 v5, v25, s0, -v62
	v_fmac_f32_e32 v63, 0xbf75a155, v16
	v_add_f32_e32 v10, v10, v11
	v_add_f32_e32 v11, v14, v43
	v_fmac_f32_e32 v44, 0xbf27a4f4, v19
	v_fma_f32 v17, v17, s1, -v28
	v_fmac_f32_e32 v34, 0x3f575c64, v16
	v_add_f32_e32 v4, v4, v5
	v_add_f32_e32 v5, v14, v63
	v_add_f32_e32 v11, v11, v44
	v_fmac_f32_e32 v45, 0xbf75a155, v21
	v_add_f32_e32 v15, v15, v17
	v_add_f32_e32 v16, v14, v34
	v_fma_f32 v14, v20, s0, -v30
	v_add_f32_e32 v11, v11, v45
	v_fmac_f32_e32 v46, 0xbe11bafb, v24
	v_add_f32_e32 v14, v15, v14
	v_fma_f32 v15, v22, s4, -v32
	v_add_f32_e32 v18, v11, v46
	v_fma_f32 v11, v31, s1, -v48
	v_fmac_f32_e32 v49, 0x3f575c64, v29
	v_add_f32_e32 v14, v14, v15
	v_fma_f32 v15, v25, s5, -v33
	v_add_u32_e32 v17, 20, v26
	v_add_f32_e32 v11, v10, v11
	v_add_f32_e32 v10, v18, v49
	;; [unrolled: 1-line block ×3, first 2 shown]
	v_mad_u64_u32 v[14:15], s[0:1], s2, v17, 0
	v_fmac_f32_e32 v35, 0x3ed4b147, v19
	v_add_f32_e32 v16, v16, v35
	v_fmac_f32_e32 v36, 0xbe11bafb, v21
	v_fmac_f32_e32 v64, 0x3f575c64, v19
	v_add_f32_e32 v19, v16, v36
	v_mad_u64_u32 v[15:16], s[0:1], s3, v17, v[15:16]
	v_add_u32_e32 v22, 25, v26
	v_mad_u64_u32 v[16:17], s[0:1], s2, v22, 0
	v_lshlrev_b64 v[14:15], 3, v[14:15]
	v_fma_f32 v20, v31, s6, -v38
	v_add_co_u32_e32 v14, vcc, v12, v14
	v_addc_co_u32_e32 v15, vcc, v13, v15, vcc
	v_fmac_f32_e32 v37, 0xbf27a4f4, v24
	global_store_dwordx2 v[14:15], v[2:3], off
	v_mov_b32_e32 v2, v17
	v_fmac_f32_e32 v65, 0xbf27a4f4, v21
	v_add_f32_e32 v21, v19, v37
	v_add_f32_e32 v19, v18, v20
	v_mad_u64_u32 v[2:3], s[0:1], s3, v22, v[2:3]
	v_add_u32_e32 v20, 30, v26
	v_mad_u64_u32 v[14:15], s[0:1], s2, v20, 0
	v_mov_b32_e32 v17, v2
	v_lshlrev_b64 v[2:3], 3, v[16:17]
	v_mad_u64_u32 v[15:16], s[0:1], s3, v20, v[15:16]
	v_add_co_u32_e32 v2, vcc, v12, v2
	v_addc_co_u32_e32 v3, vcc, v13, v3, vcc
	global_store_dwordx2 v[2:3], v[0:1], off
	v_lshlrev_b64 v[0:1], 3, v[14:15]
	v_add_u32_e32 v14, 35, v26
	v_add_f32_e32 v5, v5, v64
	v_mad_u64_u32 v[2:3], s[0:1], s2, v14, 0
	v_add_f32_e32 v5, v5, v65
	v_fmac_f32_e32 v66, 0x3ed4b147, v24
	v_add_f32_e32 v57, v5, v66
	v_fma_f32 v5, v31, s4, -v67
	v_fmac_f32_e32 v68, 0xbe11bafb, v29
	v_add_f32_e32 v5, v4, v5
	v_add_f32_e32 v4, v57, v68
	v_mad_u64_u32 v[14:15], s[0:1], s3, v14, v[3:4]
	v_or_b32_e32 v17, 40, v26
	v_mad_u64_u32 v[15:16], s[0:1], s2, v17, 0
	v_add_co_u32_e32 v0, vcc, v12, v0
	v_addc_co_u32_e32 v1, vcc, v13, v1, vcc
	v_mov_b32_e32 v3, v14
	global_store_dwordx2 v[0:1], v[4:5], off
	v_lshlrev_b64 v[0:1], 3, v[2:3]
	v_mov_b32_e32 v2, v16
	v_mad_u64_u32 v[2:3], s[0:1], s3, v17, v[2:3]
	v_add_u32_e32 v4, 45, v26
	v_add_co_u32_e32 v0, vcc, v12, v0
	v_mov_b32_e32 v16, v2
	v_mad_u64_u32 v[2:3], s[0:1], s2, v4, 0
	v_addc_co_u32_e32 v1, vcc, v13, v1, vcc
	global_store_dwordx2 v[0:1], v[6:7], off
	v_mad_u64_u32 v[3:4], s[0:1], s3, v4, v[3:4]
	v_add_u32_e32 v6, 50, v26
	v_lshlrev_b64 v[0:1], 3, v[15:16]
	v_mad_u64_u32 v[4:5], s[0:1], s2, v6, 0
	v_add_co_u32_e32 v0, vcc, v12, v0
	v_addc_co_u32_e32 v1, vcc, v13, v1, vcc
	global_store_dwordx2 v[0:1], v[8:9], off
	v_lshlrev_b64 v[0:1], 3, v[2:3]
	v_mov_b32_e32 v2, v5
	v_mad_u64_u32 v[2:3], s[0:1], s3, v6, v[2:3]
	v_add_co_u32_e32 v0, vcc, v12, v0
	v_addc_co_u32_e32 v1, vcc, v13, v1, vcc
	v_mov_b32_e32 v5, v2
	global_store_dwordx2 v[0:1], v[10:11], off
	v_lshlrev_b64 v[0:1], 3, v[4:5]
	v_fmac_f32_e32 v39, 0xbf75a155, v29
	v_add_co_u32_e32 v0, vcc, v12, v0
	v_add_f32_e32 v18, v21, v39
	v_addc_co_u32_e32 v1, vcc, v13, v1, vcc
	global_store_dwordx2 v[0:1], v[18:19], off
.LBB0_16:
	s_endpgm
	.section	.rodata,"a",@progbits
	.p2align	6, 0x0
	.amdhsa_kernel fft_rtc_fwd_len55_factors_5_11_wgs_253_tpt_11_sp_op_CI_CI_sbrr_dirReg
		.amdhsa_group_segment_fixed_size 0
		.amdhsa_private_segment_fixed_size 0
		.amdhsa_kernarg_size 104
		.amdhsa_user_sgpr_count 6
		.amdhsa_user_sgpr_private_segment_buffer 1
		.amdhsa_user_sgpr_dispatch_ptr 0
		.amdhsa_user_sgpr_queue_ptr 0
		.amdhsa_user_sgpr_kernarg_segment_ptr 1
		.amdhsa_user_sgpr_dispatch_id 0
		.amdhsa_user_sgpr_flat_scratch_init 0
		.amdhsa_user_sgpr_private_segment_size 0
		.amdhsa_uses_dynamic_stack 0
		.amdhsa_system_sgpr_private_segment_wavefront_offset 0
		.amdhsa_system_sgpr_workgroup_id_x 1
		.amdhsa_system_sgpr_workgroup_id_y 0
		.amdhsa_system_sgpr_workgroup_id_z 0
		.amdhsa_system_sgpr_workgroup_info 0
		.amdhsa_system_vgpr_workitem_id 0
		.amdhsa_next_free_vgpr 71
		.amdhsa_next_free_sgpr 32
		.amdhsa_reserve_vcc 1
		.amdhsa_reserve_flat_scratch 0
		.amdhsa_float_round_mode_32 0
		.amdhsa_float_round_mode_16_64 0
		.amdhsa_float_denorm_mode_32 3
		.amdhsa_float_denorm_mode_16_64 3
		.amdhsa_dx10_clamp 1
		.amdhsa_ieee_mode 1
		.amdhsa_fp16_overflow 0
		.amdhsa_exception_fp_ieee_invalid_op 0
		.amdhsa_exception_fp_denorm_src 0
		.amdhsa_exception_fp_ieee_div_zero 0
		.amdhsa_exception_fp_ieee_overflow 0
		.amdhsa_exception_fp_ieee_underflow 0
		.amdhsa_exception_fp_ieee_inexact 0
		.amdhsa_exception_int_div_zero 0
	.end_amdhsa_kernel
	.text
.Lfunc_end0:
	.size	fft_rtc_fwd_len55_factors_5_11_wgs_253_tpt_11_sp_op_CI_CI_sbrr_dirReg, .Lfunc_end0-fft_rtc_fwd_len55_factors_5_11_wgs_253_tpt_11_sp_op_CI_CI_sbrr_dirReg
                                        ; -- End function
	.section	.AMDGPU.csdata,"",@progbits
; Kernel info:
; codeLenInByte = 4984
; NumSgprs: 36
; NumVgprs: 71
; ScratchSize: 0
; MemoryBound: 0
; FloatMode: 240
; IeeeMode: 1
; LDSByteSize: 0 bytes/workgroup (compile time only)
; SGPRBlocks: 4
; VGPRBlocks: 17
; NumSGPRsForWavesPerEU: 36
; NumVGPRsForWavesPerEU: 71
; Occupancy: 3
; WaveLimiterHint : 1
; COMPUTE_PGM_RSRC2:SCRATCH_EN: 0
; COMPUTE_PGM_RSRC2:USER_SGPR: 6
; COMPUTE_PGM_RSRC2:TRAP_HANDLER: 0
; COMPUTE_PGM_RSRC2:TGID_X_EN: 1
; COMPUTE_PGM_RSRC2:TGID_Y_EN: 0
; COMPUTE_PGM_RSRC2:TGID_Z_EN: 0
; COMPUTE_PGM_RSRC2:TIDIG_COMP_CNT: 0
	.type	__hip_cuid_8db908688f3d4d74,@object ; @__hip_cuid_8db908688f3d4d74
	.section	.bss,"aw",@nobits
	.globl	__hip_cuid_8db908688f3d4d74
__hip_cuid_8db908688f3d4d74:
	.byte	0                               ; 0x0
	.size	__hip_cuid_8db908688f3d4d74, 1

	.ident	"AMD clang version 19.0.0git (https://github.com/RadeonOpenCompute/llvm-project roc-6.4.0 25133 c7fe45cf4b819c5991fe208aaa96edf142730f1d)"
	.section	".note.GNU-stack","",@progbits
	.addrsig
	.addrsig_sym __hip_cuid_8db908688f3d4d74
	.amdgpu_metadata
---
amdhsa.kernels:
  - .args:
      - .actual_access:  read_only
        .address_space:  global
        .offset:         0
        .size:           8
        .value_kind:     global_buffer
      - .offset:         8
        .size:           8
        .value_kind:     by_value
      - .actual_access:  read_only
        .address_space:  global
        .offset:         16
        .size:           8
        .value_kind:     global_buffer
      - .actual_access:  read_only
        .address_space:  global
        .offset:         24
        .size:           8
        .value_kind:     global_buffer
      - .actual_access:  read_only
        .address_space:  global
        .offset:         32
        .size:           8
        .value_kind:     global_buffer
      - .offset:         40
        .size:           8
        .value_kind:     by_value
      - .actual_access:  read_only
        .address_space:  global
        .offset:         48
        .size:           8
        .value_kind:     global_buffer
      - .actual_access:  read_only
        .address_space:  global
        .offset:         56
        .size:           8
        .value_kind:     global_buffer
      - .offset:         64
        .size:           4
        .value_kind:     by_value
      - .actual_access:  read_only
        .address_space:  global
        .offset:         72
        .size:           8
        .value_kind:     global_buffer
      - .actual_access:  read_only
        .address_space:  global
        .offset:         80
        .size:           8
        .value_kind:     global_buffer
      - .actual_access:  read_only
        .address_space:  global
        .offset:         88
        .size:           8
        .value_kind:     global_buffer
      - .actual_access:  write_only
        .address_space:  global
        .offset:         96
        .size:           8
        .value_kind:     global_buffer
    .group_segment_fixed_size: 0
    .kernarg_segment_align: 8
    .kernarg_segment_size: 104
    .language:       OpenCL C
    .language_version:
      - 2
      - 0
    .max_flat_workgroup_size: 253
    .name:           fft_rtc_fwd_len55_factors_5_11_wgs_253_tpt_11_sp_op_CI_CI_sbrr_dirReg
    .private_segment_fixed_size: 0
    .sgpr_count:     36
    .sgpr_spill_count: 0
    .symbol:         fft_rtc_fwd_len55_factors_5_11_wgs_253_tpt_11_sp_op_CI_CI_sbrr_dirReg.kd
    .uniform_work_group_size: 1
    .uses_dynamic_stack: false
    .vgpr_count:     71
    .vgpr_spill_count: 0
    .wavefront_size: 64
amdhsa.target:   amdgcn-amd-amdhsa--gfx906
amdhsa.version:
  - 1
  - 2
...

	.end_amdgpu_metadata
